;; amdgpu-corpus repo=ROCm/rocFFT kind=compiled arch=gfx950 opt=O3
	.text
	.amdgcn_target "amdgcn-amd-amdhsa--gfx950"
	.amdhsa_code_object_version 6
	.protected	fft_rtc_fwd_len1320_factors_11_2_3_5_4_wgs_165_tpt_165_half_ip_CI_unitstride_sbrr_C2R_dirReg ; -- Begin function fft_rtc_fwd_len1320_factors_11_2_3_5_4_wgs_165_tpt_165_half_ip_CI_unitstride_sbrr_C2R_dirReg
	.globl	fft_rtc_fwd_len1320_factors_11_2_3_5_4_wgs_165_tpt_165_half_ip_CI_unitstride_sbrr_C2R_dirReg
	.p2align	8
	.type	fft_rtc_fwd_len1320_factors_11_2_3_5_4_wgs_165_tpt_165_half_ip_CI_unitstride_sbrr_C2R_dirReg,@function
fft_rtc_fwd_len1320_factors_11_2_3_5_4_wgs_165_tpt_165_half_ip_CI_unitstride_sbrr_C2R_dirReg: ; @fft_rtc_fwd_len1320_factors_11_2_3_5_4_wgs_165_tpt_165_half_ip_CI_unitstride_sbrr_C2R_dirReg
; %bb.0:
	s_load_dwordx2 s[8:9], s[0:1], 0x50
	s_load_dwordx4 s[4:7], s[0:1], 0x0
	s_load_dwordx2 s[10:11], s[0:1], 0x18
	v_mul_u32_u24_e32 v1, 0x18e, v0
	v_add_u32_sdwa v6, s2, v1 dst_sel:DWORD dst_unused:UNUSED_PAD src0_sel:DWORD src1_sel:WORD_1
	v_mov_b32_e32 v4, 0
	s_waitcnt lgkmcnt(0)
	v_cmp_lt_u64_e64 s[2:3], s[6:7], 2
	v_mov_b32_e32 v7, v4
	s_and_b64 vcc, exec, s[2:3]
	v_mov_b64_e32 v[2:3], 0
	s_cbranch_vccnz .LBB0_8
; %bb.1:
	s_load_dwordx2 s[2:3], s[0:1], 0x10
	s_add_u32 s12, s10, 8
	s_addc_u32 s13, s11, 0
	s_mov_b64 s[14:15], 1
	v_mov_b64_e32 v[2:3], 0
	s_waitcnt lgkmcnt(0)
	s_add_u32 s16, s2, 8
	s_addc_u32 s17, s3, 0
.LBB0_2:                                ; =>This Inner Loop Header: Depth=1
	s_load_dwordx2 s[18:19], s[16:17], 0x0
                                        ; implicit-def: $vgpr8_vgpr9
	s_waitcnt lgkmcnt(0)
	v_or_b32_e32 v5, s19, v7
	v_cmp_ne_u64_e32 vcc, 0, v[4:5]
	s_and_saveexec_b64 s[2:3], vcc
	s_xor_b64 s[20:21], exec, s[2:3]
	s_cbranch_execz .LBB0_4
; %bb.3:                                ;   in Loop: Header=BB0_2 Depth=1
	v_cvt_f32_u32_e32 v1, s18
	v_cvt_f32_u32_e32 v5, s19
	s_sub_u32 s2, 0, s18
	s_subb_u32 s3, 0, s19
	v_fmac_f32_e32 v1, 0x4f800000, v5
	v_rcp_f32_e32 v1, v1
	s_nop 0
	v_mul_f32_e32 v1, 0x5f7ffffc, v1
	v_mul_f32_e32 v5, 0x2f800000, v1
	v_trunc_f32_e32 v5, v5
	v_fmac_f32_e32 v1, 0xcf800000, v5
	v_cvt_u32_f32_e32 v5, v5
	v_cvt_u32_f32_e32 v1, v1
	v_mul_lo_u32 v8, s2, v5
	v_mul_hi_u32 v10, s2, v1
	v_mul_lo_u32 v9, s3, v1
	v_add_u32_e32 v10, v10, v8
	v_mul_lo_u32 v12, s2, v1
	v_add_u32_e32 v13, v10, v9
	v_mul_hi_u32 v8, v1, v12
	v_mul_hi_u32 v11, v1, v13
	v_mul_lo_u32 v10, v1, v13
	v_mov_b32_e32 v9, v4
	v_lshl_add_u64 v[8:9], v[8:9], 0, v[10:11]
	v_mul_hi_u32 v11, v5, v12
	v_mul_lo_u32 v12, v5, v12
	v_add_co_u32_e32 v8, vcc, v8, v12
	v_mul_hi_u32 v10, v5, v13
	s_nop 0
	v_addc_co_u32_e32 v8, vcc, v9, v11, vcc
	v_mov_b32_e32 v9, v4
	s_nop 0
	v_addc_co_u32_e32 v11, vcc, 0, v10, vcc
	v_mul_lo_u32 v10, v5, v13
	v_lshl_add_u64 v[8:9], v[8:9], 0, v[10:11]
	v_add_co_u32_e32 v1, vcc, v1, v8
	v_mul_lo_u32 v10, s2, v1
	s_nop 0
	v_addc_co_u32_e32 v5, vcc, v5, v9, vcc
	v_mul_lo_u32 v8, s2, v5
	v_mul_hi_u32 v9, s2, v1
	v_add_u32_e32 v8, v9, v8
	v_mul_lo_u32 v9, s3, v1
	v_add_u32_e32 v12, v8, v9
	v_mul_hi_u32 v14, v5, v10
	v_mul_lo_u32 v15, v5, v10
	v_mul_hi_u32 v9, v1, v12
	v_mul_lo_u32 v8, v1, v12
	v_mul_hi_u32 v10, v1, v10
	v_mov_b32_e32 v11, v4
	v_lshl_add_u64 v[8:9], v[10:11], 0, v[8:9]
	v_add_co_u32_e32 v8, vcc, v8, v15
	v_mul_hi_u32 v13, v5, v12
	s_nop 0
	v_addc_co_u32_e32 v8, vcc, v9, v14, vcc
	v_mul_lo_u32 v10, v5, v12
	s_nop 0
	v_addc_co_u32_e32 v11, vcc, 0, v13, vcc
	v_mov_b32_e32 v9, v4
	v_lshl_add_u64 v[8:9], v[8:9], 0, v[10:11]
	v_add_co_u32_e32 v1, vcc, v1, v8
	v_mul_hi_u32 v10, v6, v1
	s_nop 0
	v_addc_co_u32_e32 v5, vcc, v5, v9, vcc
	v_mad_u64_u32 v[8:9], s[2:3], v6, v5, 0
	v_mov_b32_e32 v11, v4
	v_lshl_add_u64 v[8:9], v[10:11], 0, v[8:9]
	v_mad_u64_u32 v[12:13], s[2:3], v7, v1, 0
	v_add_co_u32_e32 v1, vcc, v8, v12
	v_mad_u64_u32 v[10:11], s[2:3], v7, v5, 0
	s_nop 0
	v_addc_co_u32_e32 v8, vcc, v9, v13, vcc
	v_mov_b32_e32 v9, v4
	s_nop 0
	v_addc_co_u32_e32 v11, vcc, 0, v11, vcc
	v_lshl_add_u64 v[8:9], v[8:9], 0, v[10:11]
	v_mul_lo_u32 v1, s19, v8
	v_mul_lo_u32 v5, s18, v9
	v_mad_u64_u32 v[10:11], s[2:3], s18, v8, 0
	v_add3_u32 v1, v11, v5, v1
	v_sub_u32_e32 v5, v7, v1
	v_mov_b32_e32 v11, s19
	v_sub_co_u32_e32 v14, vcc, v6, v10
	v_lshl_add_u64 v[12:13], v[8:9], 0, 1
	s_nop 0
	v_subb_co_u32_e64 v5, s[2:3], v5, v11, vcc
	v_subrev_co_u32_e64 v10, s[2:3], s18, v14
	v_subb_co_u32_e32 v1, vcc, v7, v1, vcc
	s_nop 0
	v_subbrev_co_u32_e64 v5, s[2:3], 0, v5, s[2:3]
	v_cmp_le_u32_e64 s[2:3], s19, v5
	v_cmp_le_u32_e32 vcc, s19, v1
	s_nop 0
	v_cndmask_b32_e64 v11, 0, -1, s[2:3]
	v_cmp_le_u32_e64 s[2:3], s18, v10
	s_nop 1
	v_cndmask_b32_e64 v10, 0, -1, s[2:3]
	v_cmp_eq_u32_e64 s[2:3], s19, v5
	s_nop 1
	v_cndmask_b32_e64 v5, v11, v10, s[2:3]
	v_lshl_add_u64 v[10:11], v[8:9], 0, 2
	v_cmp_ne_u32_e64 s[2:3], 0, v5
	s_nop 1
	v_cndmask_b32_e64 v5, v13, v11, s[2:3]
	v_cndmask_b32_e64 v11, 0, -1, vcc
	v_cmp_le_u32_e32 vcc, s18, v14
	s_nop 1
	v_cndmask_b32_e64 v13, 0, -1, vcc
	v_cmp_eq_u32_e32 vcc, s19, v1
	s_nop 1
	v_cndmask_b32_e32 v1, v11, v13, vcc
	v_cmp_ne_u32_e32 vcc, 0, v1
	v_cndmask_b32_e64 v1, v12, v10, s[2:3]
	s_nop 0
	v_cndmask_b32_e32 v9, v9, v5, vcc
	v_cndmask_b32_e32 v8, v8, v1, vcc
.LBB0_4:                                ;   in Loop: Header=BB0_2 Depth=1
	s_andn2_saveexec_b64 s[2:3], s[20:21]
	s_cbranch_execz .LBB0_6
; %bb.5:                                ;   in Loop: Header=BB0_2 Depth=1
	v_cvt_f32_u32_e32 v1, s18
	s_sub_i32 s20, 0, s18
	v_rcp_iflag_f32_e32 v1, v1
	s_nop 0
	v_mul_f32_e32 v1, 0x4f7ffffe, v1
	v_cvt_u32_f32_e32 v1, v1
	v_mul_lo_u32 v5, s20, v1
	v_mul_hi_u32 v5, v1, v5
	v_add_u32_e32 v1, v1, v5
	v_mul_hi_u32 v1, v6, v1
	v_mul_lo_u32 v5, v1, s18
	v_sub_u32_e32 v5, v6, v5
	v_add_u32_e32 v8, 1, v1
	v_subrev_u32_e32 v9, s18, v5
	v_cmp_le_u32_e32 vcc, s18, v5
	s_nop 1
	v_cndmask_b32_e32 v5, v5, v9, vcc
	v_cndmask_b32_e32 v1, v1, v8, vcc
	v_add_u32_e32 v8, 1, v1
	v_cmp_le_u32_e32 vcc, s18, v5
	v_mov_b32_e32 v9, v4
	s_nop 0
	v_cndmask_b32_e32 v8, v1, v8, vcc
.LBB0_6:                                ;   in Loop: Header=BB0_2 Depth=1
	s_or_b64 exec, exec, s[2:3]
	v_mad_u64_u32 v[10:11], s[2:3], v8, s18, 0
	s_load_dwordx2 s[2:3], s[12:13], 0x0
	v_mul_lo_u32 v1, v9, s18
	v_mul_lo_u32 v5, v8, s19
	v_add3_u32 v1, v11, v5, v1
	v_sub_co_u32_e32 v5, vcc, v6, v10
	s_add_u32 s14, s14, 1
	s_nop 0
	v_subb_co_u32_e32 v1, vcc, v7, v1, vcc
	s_addc_u32 s15, s15, 0
	s_waitcnt lgkmcnt(0)
	v_mul_lo_u32 v1, s2, v1
	v_mul_lo_u32 v6, s3, v5
	v_mad_u64_u32 v[2:3], s[2:3], s2, v5, v[2:3]
	s_add_u32 s12, s12, 8
	v_add3_u32 v3, v6, v3, v1
	s_addc_u32 s13, s13, 0
	v_mov_b64_e32 v[6:7], s[6:7]
	s_add_u32 s16, s16, 8
	v_cmp_ge_u64_e32 vcc, s[14:15], v[6:7]
	s_addc_u32 s17, s17, 0
	s_cbranch_vccnz .LBB0_9
; %bb.7:                                ;   in Loop: Header=BB0_2 Depth=1
	v_mov_b64_e32 v[6:7], v[8:9]
	s_branch .LBB0_2
.LBB0_8:
	v_mov_b64_e32 v[8:9], v[6:7]
.LBB0_9:
	s_lshl_b64 s[2:3], s[6:7], 3
	s_add_u32 s2, s10, s2
	s_addc_u32 s3, s11, s3
	s_load_dwordx2 s[6:7], s[2:3], 0x0
	s_load_dwordx2 s[10:11], s[0:1], 0x20
	s_mov_b32 s2, 0x18d3019
	s_waitcnt lgkmcnt(0)
	v_mul_lo_u32 v1, s6, v9
	v_mul_lo_u32 v4, s7, v8
	v_mad_u64_u32 v[2:3], s[0:1], s6, v8, v[2:3]
	v_add3_u32 v3, v4, v3, v1
	v_mul_hi_u32 v1, v0, s2
	v_mul_u32_u24_e32 v1, 0xa5, v1
	v_cmp_gt_u64_e64 s[0:1], s[10:11], v[8:9]
	v_sub_u32_e32 v0, v0, v1
	v_lshl_add_u64 v[2:3], v[2:3], 2, s[8:9]
	s_and_saveexec_b64 s[2:3], s[0:1]
	s_cbranch_execz .LBB0_13
; %bb.10:
	v_mov_b32_e32 v1, 0
	v_lshl_add_u64 v[4:5], v[0:1], 2, v[2:3]
	v_add_co_u32_e32 v6, vcc, 0x1000, v4
	s_movk_i32 s6, 0xa4
	s_nop 0
	v_addc_co_u32_e32 v7, vcc, 0, v5, vcc
	global_load_dword v8, v[4:5], off
	global_load_dword v9, v[4:5], off offset:660
	global_load_dword v10, v[4:5], off offset:1320
	;; [unrolled: 1-line block ×7, first 2 shown]
	v_lshl_add_u32 v4, v0, 2, 0
	v_cmp_eq_u32_e32 vcc, s6, v0
	v_add_u32_e32 v5, 0x400, v4
	v_add_u32_e32 v6, 0xa00, v4
	;; [unrolled: 1-line block ×3, first 2 shown]
	s_waitcnt vmcnt(6)
	ds_write2_b32 v4, v8, v9 offset1:165
	s_waitcnt vmcnt(4)
	ds_write2_b32 v5, v10, v11 offset0:74 offset1:239
	s_waitcnt vmcnt(2)
	ds_write2_b32 v6, v12, v13 offset0:20 offset1:185
	;; [unrolled: 2-line block ×3, first 2 shown]
	s_and_saveexec_b64 s[6:7], vcc
	s_cbranch_execz .LBB0_12
; %bb.11:
	v_add_co_u32_e32 v4, vcc, 0x1000, v2
	s_nop 1
	v_addc_co_u32_e32 v5, vcc, 0, v3, vcc
	global_load_dword v0, v[4:5], off offset:1184
	s_waitcnt vmcnt(0)
	ds_write_b32 v1, v0 offset:5280
	v_mov_b32_e32 v0, 0xa4
.LBB0_12:
	s_or_b64 exec, exec, s[6:7]
.LBB0_13:
	s_or_b64 exec, exec, s[2:3]
	v_lshlrev_b32_e32 v1, 2, v0
	v_add_u32_e32 v18, 0, v1
	s_waitcnt lgkmcnt(0)
	s_barrier
	v_sub_u32_e32 v8, 0, v1
	ds_read_u16 v6, v18
	ds_read_u16 v7, v8 offset:5280
	s_add_u32 s2, s4, 0x1474
	s_addc_u32 s3, s5, 0
	v_cmp_ne_u32_e32 vcc, 0, v0
                                        ; implicit-def: $vgpr4_vgpr5
	s_waitcnt lgkmcnt(0)
	v_add_f16_e32 v9, v7, v6
	v_sub_f16_e32 v10, v6, v7
	s_and_saveexec_b64 s[6:7], vcc
	s_xor_b64 s[6:7], exec, s[6:7]
	s_cbranch_execz .LBB0_15
; %bb.14:
	v_mov_b32_e32 v1, 0
	v_lshl_add_u64 v[4:5], v[0:1], 2, s[2:3]
	global_load_dword v4, v[4:5], off
	ds_read_u16 v5, v8 offset:5282
	ds_read_u16 v9, v18 offset:2
	v_add_f16_e32 v10, v7, v6
	v_sub_f16_e32 v6, v6, v7
	s_waitcnt lgkmcnt(0)
	v_add_f16_e32 v7, v5, v9
	v_sub_f16_e32 v5, v9, v5
	s_waitcnt vmcnt(0)
	v_lshrrev_b32_e32 v9, 16, v4
	v_fma_f16 v11, v6, v9, v10
	v_fma_f16 v12, v7, v9, v5
	v_fma_f16 v13, -v6, v9, v10
	v_fma_f16 v5, v7, v9, -v5
	v_fma_f16 v9, -v4, v7, v11
	v_fma_f16 v10, v6, v4, v12
	v_fma_f16 v7, v4, v7, v13
	;; [unrolled: 1-line block ×3, first 2 shown]
	v_pack_b32_f16 v4, v7, v4
	ds_write_b32 v8, v4 offset:5280
	v_mov_b64_e32 v[4:5], v[0:1]
.LBB0_15:
	s_andn2_saveexec_b64 s[6:7], s[6:7]
	s_cbranch_execz .LBB0_17
; %bb.16:
	v_mov_b32_e32 v1, 0
	ds_read_b32 v4, v1 offset:2640
	s_mov_b32 s8, 0xc0004000
	s_waitcnt lgkmcnt(0)
	v_pk_mul_f16 v4, v4, s8
	ds_write_b32 v1, v4 offset:2640
	v_mov_b64_e32 v[4:5], 0
.LBB0_17:
	s_or_b64 exec, exec, s[6:7]
	v_lshl_add_u64 v[4:5], v[4:5], 2, s[2:3]
	global_load_dword v11, v[4:5], off offset:660
	v_add_u32_e32 v4, 0x14a, v0
	v_mov_b32_e32 v5, 0
	v_lshl_add_u64 v[6:7], v[4:5], 2, s[2:3]
	global_load_dword v14, v[6:7], off
	v_add_u32_e32 v6, 0x1ef, v0
	v_mov_b32_e32 v7, v5
	v_lshl_add_u64 v[12:13], v[6:7], 2, s[2:3]
	global_load_dword v5, v[12:13], off
	s_mov_b32 s6, 0x5040100
	v_perm_b32 v1, v10, v9, s6
	ds_write_b32 v18, v1
	ds_read_b32 v7, v18 offset:660
	ds_read_b32 v9, v8 offset:4620
	v_lshl_add_u32 v1, v4, 2, 0
	v_lshl_add_u32 v23, v6, 2, 0
	v_add_u32_e32 v10, 0x200, v18
	v_add_u32_e32 v20, 0x600, v18
	s_waitcnt lgkmcnt(0)
	v_add_f16_e32 v12, v7, v9
	v_add_f16_sdwa v13, v9, v7 dst_sel:DWORD dst_unused:UNUSED_PAD src0_sel:WORD_1 src1_sel:WORD_1
	v_sub_f16_e32 v15, v7, v9
	v_sub_f16_sdwa v7, v7, v9 dst_sel:DWORD dst_unused:UNUSED_PAD src0_sel:WORD_1 src1_sel:WORD_1
	v_add_u32_e32 v19, 0xe00, v18
	s_movk_i32 s7, 0x36a6
	s_mov_b32 s9, 0xb93d
	s_mov_b32 s8, 0xb08e
	;; [unrolled: 1-line block ×3, first 2 shown]
	s_movk_i32 s11, 0x3abb
	s_movk_i32 s2, 0x78
	s_mov_b32 s18, 0xbb47
	s_mov_b32 s16, 0xbbeb
	;; [unrolled: 1-line block ×3, first 2 shown]
	s_movk_i32 s19, 0x3482
	s_movk_i32 s12, 0x3b47
	;; [unrolled: 1-line block ×3, first 2 shown]
	s_mov_b32 s14, 0xb853
	s_movk_i32 s17, 0x3853
	v_cmp_gt_u32_e32 vcc, s2, v0
	s_waitcnt vmcnt(2)
	v_lshrrev_b32_e32 v9, 16, v11
	v_fma_f16 v16, v15, v9, v12
	v_fma_f16 v17, v13, v9, v7
	v_fma_f16 v12, -v15, v9, v12
	v_fma_f16 v7, v13, v9, -v7
	v_fma_f16 v9, -v11, v13, v16
	v_fma_f16 v16, v15, v11, v17
	v_fma_f16 v12, v11, v13, v12
	v_fma_f16 v7, v15, v11, v7
	v_pack_b32_f16 v9, v9, v16
	v_pack_b32_f16 v7, v12, v7
	ds_write_b32 v18, v9 offset:660
	ds_write_b32 v8, v7 offset:4620
	ds_read_b32 v9, v1
	ds_read_b32 v11, v8 offset:3960
	s_waitcnt vmcnt(1)
	v_lshrrev_b32_e32 v12, 16, v14
	v_add_u32_e32 v7, 0xa00, v18
	s_waitcnt lgkmcnt(0)
	v_add_f16_e32 v13, v9, v11
	v_add_f16_sdwa v15, v11, v9 dst_sel:DWORD dst_unused:UNUSED_PAD src0_sel:WORD_1 src1_sel:WORD_1
	v_sub_f16_e32 v16, v9, v11
	v_sub_f16_sdwa v9, v9, v11 dst_sel:DWORD dst_unused:UNUSED_PAD src0_sel:WORD_1 src1_sel:WORD_1
	v_fma_f16 v11, v16, v12, v13
	v_fma_f16 v17, v15, v12, v9
	v_fma_f16 v13, -v16, v12, v13
	v_fma_f16 v9, v15, v12, -v9
	v_fma_f16 v11, -v14, v15, v11
	v_fma_f16 v12, v16, v14, v17
	v_fma_f16 v13, v14, v15, v13
	;; [unrolled: 1-line block ×3, first 2 shown]
	v_pack_b32_f16 v11, v11, v12
	v_pack_b32_f16 v9, v13, v9
	ds_write_b32 v1, v11
	ds_write_b32 v8, v9 offset:3960
	ds_read_b32 v9, v23
	ds_read_b32 v11, v8 offset:3300
	s_waitcnt vmcnt(0)
	v_lshrrev_b32_e32 v12, 16, v5
	s_waitcnt lgkmcnt(0)
	v_add_f16_e32 v13, v9, v11
	v_add_f16_sdwa v14, v11, v9 dst_sel:DWORD dst_unused:UNUSED_PAD src0_sel:WORD_1 src1_sel:WORD_1
	v_sub_f16_e32 v15, v9, v11
	v_sub_f16_sdwa v9, v9, v11 dst_sel:DWORD dst_unused:UNUSED_PAD src0_sel:WORD_1 src1_sel:WORD_1
	v_fma_f16 v11, v15, v12, v13
	v_fma_f16 v16, v14, v12, v9
	v_fma_f16 v13, -v15, v12, v13
	v_fma_f16 v9, v14, v12, -v9
	v_fma_f16 v11, -v5, v14, v11
	v_fma_f16 v12, v15, v5, v16
	v_fma_f16 v13, v5, v14, v13
	v_fma_f16 v5, v15, v5, v9
	v_pack_b32_f16 v9, v11, v12
	v_pack_b32_f16 v5, v13, v5
	ds_write_b32 v23, v9
	ds_write_b32 v8, v5 offset:3300
	s_waitcnt lgkmcnt(0)
	s_barrier
	s_barrier
	ds_read2_b32 v[8:9], v18 offset1:120
	ds_read_b32 v26, v18 offset:4800
	ds_read2_b32 v[16:17], v10 offset0:112 offset1:232
	ds_read2_b32 v[14:15], v20 offset0:96 offset1:216
	;; [unrolled: 1-line block ×4, first 2 shown]
	s_waitcnt lgkmcnt(4)
	v_sub_f16_sdwa v32, v9, v26 dst_sel:DWORD dst_unused:UNUSED_PAD src0_sel:WORD_1 src1_sel:WORD_1
	v_add_f16_e32 v24, v26, v9
	v_sub_f16_e32 v35, v9, v26
	v_mul_f16_e32 v39, 0xbb47, v32
	s_waitcnt lgkmcnt(0)
	v_sub_f16_sdwa v33, v16, v11 dst_sel:DWORD dst_unused:UNUSED_PAD src0_sel:WORD_1 src1_sel:WORD_1
	v_add_f16_sdwa v27, v26, v9 dst_sel:DWORD dst_unused:UNUSED_PAD src0_sel:WORD_1 src1_sel:WORD_1
	v_add_f16_e32 v25, v11, v16
	v_sub_f16_e32 v36, v16, v11
	v_mul_f16_e32 v42, 0xbb47, v35
	v_mul_f16_e32 v40, 0xba0c, v33
	v_fma_f16 v5, v24, s7, v39
	v_add_f16_sdwa v28, v11, v16 dst_sel:DWORD dst_unused:UNUSED_PAD src0_sel:WORD_1 src1_sel:WORD_1
	v_mul_f16_e32 v49, 0xbbeb, v32
	v_mul_f16_e32 v45, 0xba0c, v36
	v_fma_f16 v19, v27, s7, -v42
	v_fma_f16 v29, v25, s9, v40
	v_add_f16_e32 v5, v8, v5
	v_mul_f16_e32 v54, 0xbbeb, v35
	v_fma_f16 v21, v24, s8, v49
	v_add_f16_sdwa v19, v8, v19 dst_sel:DWORD dst_unused:UNUSED_PAD src0_sel:WORD_1 src1_sel:DWORD
	v_add_f16_e32 v5, v29, v5
	v_fma_f16 v29, v28, s9, -v45
	v_mul_f16_e32 v52, 0x3482, v33
	v_fma_f16 v22, v27, s8, -v54
	v_add_f16_e32 v21, v8, v21
	v_add_f16_e32 v19, v29, v19
	v_mul_f16_e32 v58, 0x3482, v36
	v_fma_f16 v29, v25, s10, v52
	v_add_f16_sdwa v22, v8, v22 dst_sel:DWORD dst_unused:UNUSED_PAD src0_sel:WORD_1 src1_sel:DWORD
	v_add_f16_e32 v21, v29, v21
	v_fma_f16 v29, v28, s10, -v58
	v_sub_f16_sdwa v38, v17, v10 dst_sel:DWORD dst_unused:UNUSED_PAD src0_sel:WORD_1 src1_sel:WORD_1
	v_add_f16_e32 v22, v29, v22
	v_add_f16_e32 v29, v10, v17
	v_sub_f16_e32 v43, v17, v10
	v_mul_f16_e32 v46, 0x3482, v38
	v_add_f16_sdwa v30, v10, v17 dst_sel:DWORD dst_unused:UNUSED_PAD src0_sel:WORD_1 src1_sel:WORD_1
	v_mul_f16_e32 v50, 0x3482, v43
	v_fma_f16 v31, v29, s10, v46
	v_add_f16_e32 v5, v31, v5
	v_fma_f16 v31, v30, s10, -v50
	v_mul_f16_e32 v56, 0x3b47, v38
	v_add_f16_e32 v19, v31, v19
	v_mul_f16_e32 v61, 0x3b47, v43
	v_fma_f16 v31, v29, s7, v56
	v_add_f16_e32 v21, v31, v21
	v_fma_f16 v31, v30, s7, -v61
	v_sub_f16_sdwa v44, v14, v13 dst_sel:DWORD dst_unused:UNUSED_PAD src0_sel:WORD_1 src1_sel:WORD_1
	v_add_f16_e32 v22, v31, v22
	v_add_f16_e32 v31, v13, v14
	v_sub_f16_e32 v47, v14, v13
	v_mul_f16_e32 v51, 0x3beb, v44
	v_add_f16_sdwa v34, v13, v14 dst_sel:DWORD dst_unused:UNUSED_PAD src0_sel:WORD_1 src1_sel:WORD_1
	v_mul_f16_e32 v55, 0x3beb, v47
	v_fma_f16 v37, v31, s8, v51
	v_add_f16_e32 v5, v37, v5
	v_fma_f16 v37, v34, s8, -v55
	v_mul_f16_e32 v59, 0xb853, v44
	v_add_f16_e32 v19, v37, v19
	v_mul_f16_e32 v63, 0xb853, v47
	v_fma_f16 v37, v31, s11, v59
	v_add_f16_e32 v21, v37, v21
	v_fma_f16 v37, v34, s11, -v63
	v_sub_f16_sdwa v48, v15, v12 dst_sel:DWORD dst_unused:UNUSED_PAD src0_sel:WORD_1 src1_sel:WORD_1
	v_add_f16_e32 v22, v37, v22
	v_add_f16_e32 v37, v12, v15
	v_mul_f16_e32 v57, 0x3853, v48
	v_fma_f16 v41, v37, s11, v57
	v_sub_f16_e32 v53, v15, v12
	v_add_f16_e32 v5, v41, v5
	v_add_f16_sdwa v41, v12, v15 dst_sel:DWORD dst_unused:UNUSED_PAD src0_sel:WORD_1 src1_sel:WORD_1
	v_mul_f16_e32 v60, 0x3853, v53
	v_fma_f16 v62, v41, s11, -v60
	v_add_f16_e32 v19, v62, v19
	v_mul_f16_e32 v62, 0xba0c, v48
	v_fma_f16 v64, v37, s9, v62
	v_add_f16_e32 v21, v64, v21
	v_mul_f16_e32 v64, 0xba0c, v53
	v_fma_f16 v65, v41, s9, -v64
	v_add_f16_e32 v22, v65, v22
	s_barrier
	s_and_saveexec_b64 s[2:3], vcc
	s_cbranch_execz .LBB0_19
; %bb.18:
	v_mul_f16_e32 v65, 0xb93d, v27
	s_movk_i32 s20, 0x3a0c
	v_fma_f16 v66, v35, s20, v65
	v_mul_f16_e32 v67, 0xb08e, v28
	v_add_f16_sdwa v66, v8, v66 dst_sel:DWORD dst_unused:UNUSED_PAD src0_sel:WORD_1 src1_sel:DWORD
	v_fma_f16 v68, v36, s16, v67
	v_add_f16_e32 v66, v68, v66
	v_mul_f16_e32 v68, 0x3abb, v30
	v_fma_f16 v69, v43, s17, v68
	v_add_f16_e32 v66, v69, v66
	v_mul_f16_e32 v69, 0xbbad, v34
	;; [unrolled: 3-line block ×4, first 2 shown]
	v_fma_f16 v72, v24, s9, v71
	v_mul_f16_e32 v73, 0x3beb, v33
	v_add_f16_e32 v72, v8, v72
	v_fma_f16 v74, v25, s8, v73
	v_add_f16_e32 v72, v74, v72
	v_mul_f16_e32 v74, 0xb853, v38
	v_fma_f16 v75, v29, s11, v74
	v_add_f16_e32 v72, v75, v72
	v_mul_f16_e32 v75, 0xb482, v44
	;; [unrolled: 3-line block ×4, first 2 shown]
	v_fma_f16 v78, v35, s19, v77
	v_mul_f16_e32 v79, 0x3abb, v28
	v_add_f16_sdwa v78, v8, v78 dst_sel:DWORD dst_unused:UNUSED_PAD src0_sel:WORD_1 src1_sel:DWORD
	v_fma_f16 v80, v36, s14, v79
	v_add_f16_e32 v78, v80, v78
	v_mul_f16_e32 v80, 0xb93d, v30
	v_fma_f16 v81, v43, s20, v80
	v_fma_f16 v65, v35, s13, v65
	v_add_f16_e32 v78, v81, v78
	v_mul_f16_e32 v81, 0x36a6, v34
	v_add_f16_sdwa v65, v8, v65 dst_sel:DWORD dst_unused:UNUSED_PAD src0_sel:WORD_1 src1_sel:DWORD
	v_fma_f16 v67, v36, s15, v67
	v_fma_f16 v82, v47, s18, v81
	s_mov_b32 s18, 0xb482
	v_add_f16_e32 v65, v67, v65
	v_fma_f16 v67, v43, s14, v68
	v_add_f16_e32 v65, v67, v65
	v_fma_f16 v67, v47, s18, v69
	v_add_f16_e32 v65, v67, v65
	v_fma_f16 v67, v53, s12, v70
	v_add_f16_e32 v65, v67, v65
	v_fma_f16 v67, v24, s9, -v71
	v_add_f16_e32 v67, v8, v67
	v_fma_f16 v68, v25, s8, -v73
	;; [unrolled: 2-line block ×5, first 2 shown]
	v_add_f16_e32 v67, v69, v67
	v_mul_f16_e32 v69, 0xb08e, v27
	v_add_f16_e32 v54, v54, v69
	v_mul_f16_e32 v69, 0xbbad, v28
	v_add_f16_e32 v58, v58, v69
	v_add_f16_sdwa v54, v8, v54 dst_sel:DWORD dst_unused:UNUSED_PAD src0_sel:WORD_1 src1_sel:DWORD
	v_add_f16_e32 v54, v58, v54
	v_mul_f16_e32 v58, 0x36a6, v30
	v_add_f16_e32 v58, v61, v58
	v_add_f16_e32 v54, v58, v54
	v_mul_f16_e32 v58, 0x3abb, v34
	v_add_f16_e32 v58, v63, v58
	v_add_f16_e32 v54, v58, v54
	v_mul_f16_e32 v58, 0xb93d, v41
	v_mul_f16_e32 v61, 0xb08e, v24
	v_add_f16_e32 v58, v64, v58
	v_add_f16_e32 v54, v58, v54
	v_mul_f16_e32 v58, 0xbbad, v25
	v_sub_f16_e32 v49, v61, v49
	v_sub_f16_e32 v52, v58, v52
	v_add_f16_e32 v49, v8, v49
	v_add_f16_e32 v49, v52, v49
	v_mul_f16_e32 v52, 0x36a6, v29
	v_mul_f16_e32 v68, 0x36a6, v24
	v_sub_f16_e32 v52, v52, v56
	v_mul_f16_e32 v69, 0x36a6, v27
	v_mul_f16_e32 v63, 0xb93d, v25
	v_add_f16_e32 v49, v52, v49
	v_mul_f16_e32 v52, 0x3abb, v31
	v_sub_f16_e32 v39, v68, v39
	v_mul_f16_e32 v64, 0xb93d, v28
	v_mul_f16_e32 v61, 0xbbad, v29
	v_sub_f16_e32 v52, v52, v59
	v_add_f16_e32 v42, v42, v69
	v_add_f16_e32 v39, v8, v39
	v_sub_f16_e32 v40, v63, v40
	v_mul_f16_e32 v58, 0xbbad, v30
	v_mul_f16_e32 v56, 0xb08e, v31
	v_add_f16_e32 v49, v52, v49
	v_mul_f16_e32 v52, 0xb93d, v37
	v_add_f16_sdwa v42, v8, v42 dst_sel:DWORD dst_unused:UNUSED_PAD src0_sel:WORD_1 src1_sel:DWORD
	v_add_f16_e32 v45, v45, v64
	v_add_f16_e32 v39, v40, v39
	v_sub_f16_e32 v40, v61, v46
	v_mul_f16_e32 v59, 0xb08e, v34
	v_sub_f16_e32 v52, v52, v62
	v_mul_f16_e32 v62, 0x3abb, v37
	v_add_f16_e32 v42, v45, v42
	v_add_f16_e32 v45, v50, v58
	;; [unrolled: 1-line block ×3, first 2 shown]
	v_sub_f16_e32 v40, v56, v51
	v_fma_f16 v77, v35, s18, v77
	v_add_f16_e32 v49, v52, v49
	v_mul_f16_e32 v52, 0x3abb, v41
	v_add_f16_e32 v42, v45, v42
	v_add_f16_e32 v45, v55, v59
	;; [unrolled: 1-line block ×3, first 2 shown]
	v_sub_f16_e32 v40, v62, v57
	v_mul_f16_e32 v35, 0xb853, v35
	v_add_f16_sdwa v77, v8, v77 dst_sel:DWORD dst_unused:UNUSED_PAD src0_sel:WORD_1 src1_sel:DWORD
	v_fma_f16 v79, v36, s17, v79
	v_add_f16_e32 v42, v45, v42
	v_add_f16_e32 v45, v60, v52
	;; [unrolled: 1-line block ×3, first 2 shown]
	v_fma_f16 v40, v27, s11, v35
	v_mul_f16_e32 v36, 0xbb47, v36
	v_add_f16_e32 v78, v82, v78
	v_mul_f16_e32 v82, 0xb08e, v41
	v_add_f16_e32 v77, v79, v77
	v_fma_f16 v79, v43, s13, v80
	v_add_f16_e32 v42, v45, v42
	v_add_f16_sdwa v40, v8, v40 dst_sel:DWORD dst_unused:UNUSED_PAD src0_sel:WORD_1 src1_sel:DWORD
	v_fma_f16 v45, v28, s7, v36
	v_mul_f16_e32 v43, 0xbbeb, v43
	v_fma_f16 v83, v53, s15, v82
	v_add_f16_e32 v40, v45, v40
	v_fma_f16 v45, v30, s8, v43
	v_add_f16_e32 v78, v83, v78
	v_mul_f16_e32 v83, 0xb482, v32
	v_add_f16_e32 v40, v45, v40
	v_mul_f16_e32 v45, 0xba0c, v47
	v_fma_f16 v84, v24, s10, v83
	v_mul_f16_e32 v85, 0x3853, v33
	v_fma_f16 v46, v34, s9, v45
	v_add_f16_e32 v84, v8, v84
	v_fma_f16 v86, v25, s11, v85
	v_add_f16_e32 v40, v46, v40
	v_mul_f16_e32 v46, 0xb482, v53
	v_add_f16_e32 v84, v86, v84
	v_mul_f16_e32 v86, 0xba0c, v38
	v_add_f16_e32 v77, v79, v77
	v_fma_f16 v79, v47, s12, v81
	v_fma_f16 v47, v41, s10, v46
	v_mul_f16_e32 v32, 0xb853, v32
	v_fma_f16 v87, v29, s9, v86
	v_add_f16_e32 v40, v47, v40
	v_fma_f16 v47, v24, s11, -v32
	v_mul_f16_e32 v33, 0xbb47, v33
	v_add_f16_e32 v84, v87, v84
	v_mul_f16_e32 v87, 0x3b47, v44
	v_add_f16_e32 v47, v8, v47
	v_fma_f16 v50, v25, s7, -v33
	v_mul_f16_e32 v38, 0xbbeb, v38
	v_fma_f16 v88, v31, s7, v87
	v_add_f16_e32 v47, v50, v47
	v_fma_f16 v50, v29, s8, -v38
	v_mul_f16_e32 v44, 0xba0c, v44
	v_add_f16_e32 v84, v88, v84
	v_mul_f16_e32 v88, 0xbbeb, v48
	v_add_f16_e32 v47, v50, v47
	v_fma_f16 v50, v31, s9, -v44
	v_mul_f16_e32 v48, 0xb482, v48
	v_add_f16_e32 v47, v50, v47
	v_fma_f16 v50, v37, s10, -v48
	v_add_f16_e32 v47, v50, v47
	v_add_f16_e32 v50, v8, v9
	v_add_f16_sdwa v9, v8, v9 dst_sel:DWORD dst_unused:UNUSED_PAD src0_sel:WORD_1 src1_sel:WORD_1
	v_add_f16_e32 v50, v50, v16
	v_add_f16_sdwa v9, v9, v16 dst_sel:DWORD dst_unused:UNUSED_PAD src0_sel:DWORD src1_sel:WORD_1
	v_add_f16_e32 v50, v50, v17
	v_add_f16_sdwa v9, v9, v17 dst_sel:DWORD dst_unused:UNUSED_PAD src0_sel:DWORD src1_sel:WORD_1
	;; [unrolled: 2-line block ×7, first 2 shown]
	v_fma_f16 v10, v27, s11, -v35
	v_add_f16_e32 v50, v50, v11
	v_add_f16_sdwa v9, v9, v11 dst_sel:DWORD dst_unused:UNUSED_PAD src0_sel:DWORD src1_sel:WORD_1
	v_add_f16_sdwa v10, v8, v10 dst_sel:DWORD dst_unused:UNUSED_PAD src0_sel:WORD_1 src1_sel:DWORD
	v_fma_f16 v11, v28, s7, -v36
	v_add_f16_e32 v10, v11, v10
	v_fma_f16 v11, v30, s8, -v43
	v_add_f16_e32 v10, v11, v10
	;; [unrolled: 2-line block ×3, first 2 shown]
	v_fma_f16 v79, v53, s16, v82
	v_add_f16_e32 v10, v11, v10
	v_fma_f16 v11, v41, s10, -v46
	v_add_f16_e32 v77, v79, v77
	v_fma_f16 v79, v24, s10, -v83
	v_add_f16_e32 v10, v11, v10
	v_fma_f16 v11, v24, s11, v32
	v_add_f16_e32 v79, v8, v79
	v_add_f16_e32 v8, v8, v11
	v_fma_f16 v11, v25, s7, v33
	v_fma_f16 v80, v25, s11, -v85
	v_add_f16_e32 v8, v11, v8
	v_fma_f16 v11, v29, s8, v38
	v_add_f16_e32 v79, v80, v79
	v_fma_f16 v80, v29, s9, -v86
	v_add_f16_e32 v8, v11, v8
	v_fma_f16 v11, v31, s9, v44
	v_add_f16_e32 v79, v80, v79
	v_fma_f16 v80, v31, s7, -v87
	v_add_f16_e32 v50, v50, v26
	v_add_f16_sdwa v9, v9, v26 dst_sel:DWORD dst_unused:UNUSED_PAD src0_sel:DWORD src1_sel:WORD_1
	v_add_f16_e32 v8, v11, v8
	v_fma_f16 v11, v37, s10, v48
	v_add_f16_e32 v79, v80, v79
	v_fma_f16 v80, v37, s8, -v88
	v_add_f16_e32 v8, v11, v8
	v_mad_u32_u24 v11, v0, 40, v18
	v_pack_b32_f16 v12, v47, v40
	v_pack_b32_f16 v9, v50, v9
	v_fma_f16 v89, v37, s8, v88
	v_add_f16_e32 v79, v80, v79
	ds_write2_b32 v11, v9, v12 offset1:1
	v_pack_b32_f16 v9, v49, v54
	v_pack_b32_f16 v12, v39, v42
	v_add_f16_e32 v84, v89, v84
	ds_write2_b32 v11, v12, v9 offset0:2 offset1:3
	v_pack_b32_f16 v9, v79, v77
	v_pack_b32_f16 v12, v67, v65
	ds_write2_b32 v11, v12, v9 offset0:4 offset1:5
	v_pack_b32_f16 v9, v72, v66
	v_pack_b32_f16 v12, v84, v78
	ds_write2_b32 v11, v12, v9 offset0:6 offset1:7
	v_perm_b32 v9, v19, v5, s6
	v_perm_b32 v12, v22, v21, s6
	v_pack_b32_f16 v8, v8, v10
	ds_write2_b32 v11, v12, v9 offset0:8 offset1:9
	ds_write_b32 v11, v8 offset:40
.LBB0_19:
	s_or_b64 exec, exec, s[2:3]
	s_mov_b32 s2, 0xba2f
	v_add_u32_e32 v12, 0xa5, v0
	v_mul_u32_u24_sdwa v10, v6, s2 dst_sel:DWORD dst_unused:UNUSED_PAD src0_sel:WORD_0 src1_sel:DWORD
	v_mul_u32_u24_sdwa v16, v12, s2 dst_sel:DWORD dst_unused:UNUSED_PAD src0_sel:WORD_0 src1_sel:DWORD
	v_lshrrev_b32_e32 v24, 19, v10
	v_lshrrev_b32_e32 v15, 19, v16
	v_mul_lo_u16_e32 v10, 11, v24
	v_mul_lo_u16_e32 v8, 11, v15
	v_mul_u32_u24_sdwa v13, v4, s2 dst_sel:DWORD dst_unused:UNUSED_PAD src0_sel:WORD_0 src1_sel:DWORD
	v_sub_u16_e32 v6, v6, v10
	s_movk_i32 s2, 0x75
	v_sub_u16_e32 v8, v12, v8
	v_lshlrev_b32_e32 v25, 2, v6
	v_mul_lo_u16_sdwa v6, v0, s2 dst_sel:DWORD dst_unused:UNUSED_PAD src0_sel:BYTE_0 src1_sel:DWORD
	v_lshlrev_b32_e32 v27, 2, v8
	v_sub_u16_sdwa v8, v0, v6 dst_sel:DWORD dst_unused:UNUSED_PAD src0_sel:DWORD src1_sel:BYTE_1
	v_lshrrev_b32_e32 v17, 19, v13
	v_lshrrev_b16_e32 v8, 1, v8
	v_mul_lo_u16_e32 v9, 11, v17
	v_and_b32_e32 v8, 0x7f, v8
	v_sub_u16_e32 v9, v4, v9
	v_add_u16_sdwa v6, v8, v6 dst_sel:DWORD dst_unused:UNUSED_PAD src0_sel:DWORD src1_sel:BYTE_1
	s_waitcnt lgkmcnt(0)
	s_barrier
	global_load_dword v26, v25, s[4:5]
	v_lshlrev_b32_e32 v28, 2, v9
	v_lshrrev_b16_e32 v31, 3, v6
	global_load_dword v29, v28, s[4:5]
	global_load_dword v30, v27, s[4:5]
	v_mul_lo_u16_e32 v6, 11, v31
	v_sub_u16_e32 v6, v0, v6
	v_mov_b32_e32 v14, 2
	v_lshlrev_b32_sdwa v32, v14, v6 dst_sel:DWORD dst_unused:UNUSED_PAD src0_sel:DWORD src1_sel:BYTE_0
	global_load_dword v33, v32, s[4:5]
	v_add_u32_e32 v10, 0xf00, v18
	ds_read2_b32 v[8:9], v18 offset1:165
	ds_read2_b32 v[6:7], v7 offset0:20 offset1:185
	ds_read_b32 v34, v1
	ds_read_b32 v23, v23
	ds_read2_b32 v[10:11], v10 offset0:30 offset1:195
	s_movk_i32 s3, 0x58
	v_perm_b32 v17, v24, v17, s6
	v_mul_u32_u24_e32 v15, 0x58, v15
	v_pk_mul_lo_u16 v17, v17, s3 op_sel_hi:[1,0]
	v_add3_u32 v27, 0, v15, v27
	v_and_b32_e32 v24, 0xfff8, v17
	v_lshrrev_b32_e32 v17, 16, v17
	v_mul_u32_u24_e32 v15, 0x58, v31
	v_add3_u32 v17, 0, v17, v25
	v_add3_u32 v25, 0, v15, v32
	s_mov_b32 s2, 0xffff
	v_add3_u32 v24, 0, v24, v28
	v_add_u32_e32 v35, 0xd00, v18
	s_waitcnt lgkmcnt(0)
	s_barrier
	s_waitcnt vmcnt(3)
	v_pk_mul_f16 v15, v26, v11 op_sel:[0,1]
	s_nop 0
	v_pk_fma_f16 v32, v26, v11, v15 op_sel:[0,0,1] op_sel_hi:[1,0,0]
	v_pk_fma_f16 v11, v26, v11, v15 op_sel:[0,0,1] op_sel_hi:[1,0,0] neg_lo:[0,0,1] neg_hi:[0,0,1]
	s_waitcnt vmcnt(1)
	v_pk_mul_f16 v31, v30, v7 op_sel:[0,1]
	v_pk_mul_f16 v28, v29, v10 op_sel:[0,1]
	v_pk_fma_f16 v26, v30, v7, v31 op_sel:[0,0,1] op_sel_hi:[1,1,0] neg_lo:[0,0,1] neg_hi:[0,0,1]
	v_pk_fma_f16 v7, v30, v7, v31 op_sel:[0,0,1] op_sel_hi:[1,0,0]
	v_bfi_b32 v11, s2, v11, v32
	v_pk_fma_f16 v15, v29, v10, v28 op_sel:[0,0,1] op_sel_hi:[1,1,0] neg_lo:[0,0,1] neg_hi:[0,0,1]
	v_pk_fma_f16 v10, v29, v10, v28 op_sel:[0,0,1] op_sel_hi:[1,0,0]
	v_bfi_b32 v7, s2, v26, v7
	v_pk_add_f16 v26, v23, v11 neg_lo:[0,1] neg_hi:[0,1]
	v_bfi_b32 v10, s2, v15, v10
	v_pk_fma_f16 v15, v23, 2.0, v26 op_sel_hi:[1,0,1] neg_lo:[0,0,1] neg_hi:[0,0,1]
	s_waitcnt vmcnt(0)
	v_pk_mul_f16 v23, v33, v6 op_sel:[0,1]
	v_pk_add_f16 v10, v34, v10 neg_lo:[0,1] neg_hi:[0,1]
	v_pk_fma_f16 v28, v33, v6, v23 op_sel:[0,0,1] op_sel_hi:[1,1,0] neg_lo:[0,0,1] neg_hi:[0,0,1]
	v_pk_fma_f16 v6, v33, v6, v23 op_sel:[0,0,1] op_sel_hi:[1,0,0]
	v_pk_add_f16 v7, v9, v7 neg_lo:[0,1] neg_hi:[0,1]
	v_bfi_b32 v6, s2, v28, v6
	v_pk_add_f16 v6, v8, v6 neg_lo:[0,1] neg_hi:[0,1]
	v_pk_fma_f16 v11, v34, 2.0, v10 op_sel_hi:[1,0,1] neg_lo:[0,0,1] neg_hi:[0,0,1]
	v_pk_fma_f16 v9, v9, 2.0, v7 op_sel_hi:[1,0,1] neg_lo:[0,0,1] neg_hi:[0,0,1]
	;; [unrolled: 1-line block ×3, first 2 shown]
	ds_write2_b32 v25, v8, v6 offset1:11
	ds_write2_b32 v27, v9, v7 offset1:11
	;; [unrolled: 1-line block ×4, first 2 shown]
	s_waitcnt lgkmcnt(0)
	s_barrier
	ds_read2_b32 v[6:7], v18 offset1:165
	ds_read2_b32 v[10:11], v20 offset0:56 offset1:221
	ds_read2_b32 v[8:9], v35 offset0:48 offset1:213
	s_movk_i32 s2, 0x6e
	v_alignbit_b32 v20, v26, v26, 16
	v_cmp_gt_u32_e32 vcc, s2, v0
	s_and_saveexec_b64 s[2:3], vcc
	s_cbranch_execz .LBB0_21
; %bb.20:
	ds_read_b32 v17, v18 offset:3080
	ds_read_b32 v21, v18 offset:4840
	ds_read_b32 v15, v1
	s_waitcnt lgkmcnt(2)
	v_alignbit_b32 v20, v17, v17, 16
	s_waitcnt lgkmcnt(1)
	v_lshrrev_b32_e32 v22, 16, v21
.LBB0_21:
	s_or_b64 exec, exec, s[2:3]
	v_lshrrev_b16_e32 v17, 1, v0
	v_and_b32_e32 v17, 0x7f, v17
	v_mul_lo_u16_e32 v17, 0xbb, v17
	v_lshrrev_b16_e32 v23, 11, v17
	v_mul_lo_u16_e32 v17, 22, v23
	v_lshrrev_b32_e32 v31, 20, v16
	v_sub_u16_e32 v30, v0, v17
	v_mov_b32_e32 v17, 3
	v_mul_lo_u16_e32 v16, 22, v31
	v_lshlrev_b32_sdwa v17, v17, v30 dst_sel:DWORD dst_unused:UNUSED_PAD src0_sel:DWORD src1_sel:BYTE_0
	v_sub_u16_e32 v32, v12, v16
	v_lshrrev_b32_e32 v16, 20, v13
	global_load_dwordx2 v[24:25], v17, s[4:5] offset:44
	v_lshlrev_b32_e32 v17, 3, v32
	v_mul_lo_u16_e32 v13, 22, v16
	global_load_dwordx2 v[26:27], v17, s[4:5] offset:44
	v_sub_u16_e32 v17, v4, v13
	v_lshlrev_b32_e32 v4, 3, v17
	global_load_dwordx2 v[28:29], v4, s[4:5] offset:44
	s_waitcnt lgkmcnt(1)
	v_lshrrev_b32_e32 v13, 16, v10
	s_waitcnt lgkmcnt(0)
	v_lshrrev_b32_e32 v33, 16, v8
	v_lshrrev_b32_e32 v34, 16, v11
	;; [unrolled: 1-line block ×7, first 2 shown]
	s_movk_i32 s2, 0x3aee
	s_mov_b32 s3, 0xbaee
	v_lshlrev_b32_sdwa v14, v14, v30 dst_sel:DWORD dst_unused:UNUSED_PAD src0_sel:DWORD src1_sel:BYTE_0
	s_barrier
	s_waitcnt vmcnt(2)
	v_mul_f16_sdwa v39, v24, v13 dst_sel:DWORD dst_unused:UNUSED_PAD src0_sel:WORD_1 src1_sel:DWORD
	v_mul_f16_sdwa v40, v24, v10 dst_sel:DWORD dst_unused:UNUSED_PAD src0_sel:WORD_1 src1_sel:DWORD
	;; [unrolled: 1-line block ×4, first 2 shown]
	s_waitcnt vmcnt(1)
	v_mul_f16_sdwa v43, v26, v34 dst_sel:DWORD dst_unused:UNUSED_PAD src0_sel:WORD_1 src1_sel:DWORD
	v_mul_f16_sdwa v44, v26, v11 dst_sel:DWORD dst_unused:UNUSED_PAD src0_sel:WORD_1 src1_sel:DWORD
	;; [unrolled: 1-line block ×4, first 2 shown]
	s_waitcnt vmcnt(0)
	v_mul_f16_sdwa v47, v20, v28 dst_sel:DWORD dst_unused:UNUSED_PAD src0_sel:DWORD src1_sel:WORD_1
	v_mul_f16_sdwa v49, v22, v29 dst_sel:DWORD dst_unused:UNUSED_PAD src0_sel:DWORD src1_sel:WORD_1
	;; [unrolled: 1-line block ×4, first 2 shown]
	v_fma_f16 v10, v24, v10, -v39
	v_fma_f16 v13, v24, v13, v40
	v_fma_f16 v8, v25, v8, -v41
	v_fma_f16 v24, v25, v33, v42
	v_fma_f16 v11, v26, v11, -v43
	v_fma_f16 v25, v26, v34, v44
	v_fma_f16 v9, v27, v9, -v45
	v_fma_f16 v26, v27, v35, v46
	v_fma_f16 v27, v37, v28, -v47
	v_fma_f16 v21, v21, v29, -v49
	v_fma_f16 v20, v20, v28, v48
	v_fma_f16 v22, v22, v29, v50
	v_add_f16_e32 v28, v10, v6
	v_add_f16_e32 v29, v10, v8
	v_sub_f16_e32 v33, v13, v24
	v_add_f16_e32 v34, v13, v36
	v_add_f16_e32 v13, v13, v24
	;; [unrolled: 1-line block ×4, first 2 shown]
	v_sub_f16_e32 v10, v10, v8
	v_add_f16_e32 v35, v7, v11
	v_sub_f16_e32 v39, v25, v26
	v_add_f16_e32 v40, v4, v25
	v_add_f16_e32 v25, v25, v26
	;; [unrolled: 1-line block ×3, first 2 shown]
	v_sub_f16_e32 v43, v20, v22
	v_add_f16_e32 v44, v38, v20
	v_add_f16_e32 v20, v20, v22
	;; [unrolled: 1-line block ×3, first 2 shown]
	v_fma_f16 v6, v29, -0.5, v6
	v_fma_f16 v8, v13, -0.5, v36
	;; [unrolled: 1-line block ×4, first 2 shown]
	v_sub_f16_e32 v11, v11, v9
	v_add_f16_e32 v24, v34, v24
	v_add_f16_e32 v29, v35, v9
	v_fma_f16 v25, v25, -0.5, v4
	v_add_f16_e32 v9, v44, v22
	v_fma_f16 v20, v20, -0.5, v38
	v_fma_f16 v22, v33, s2, v6
	v_fma_f16 v34, v10, s3, v8
	;; [unrolled: 1-line block ×7, first 2 shown]
	v_sub_f16_e32 v13, v27, v21
	v_mul_u32_u24_e32 v15, 0x108, v23
	v_fma_f16 v33, v33, s3, v6
	v_fma_f16 v37, v11, s3, v25
	;; [unrolled: 1-line block ×5, first 2 shown]
	v_add3_u32 v14, 0, v15, v14
	v_pack_b32_f16 v15, v28, v24
	v_pack_b32_f16 v20, v22, v34
	ds_write2_b32 v14, v15, v20 offset1:22
	v_pack_b32_f16 v15, v33, v35
	v_add_f16_e32 v26, v40, v26
	ds_write_b32 v14, v15 offset:176
	v_mul_u32_u24_e32 v14, 0x108, v31
	v_lshlrev_b32_e32 v15, 2, v32
	v_add3_u32 v14, 0, v14, v15
	v_pack_b32_f16 v15, v29, v26
	v_pack_b32_f16 v20, v36, v37
	v_add_f16_e32 v7, v41, v21
	ds_write2_b32 v14, v15, v20 offset1:22
	v_pack_b32_f16 v15, v4, v6
	ds_write_b32 v14, v15 offset:176
	s_and_saveexec_b64 s[2:3], vcc
	s_cbranch_execz .LBB0_23
; %bb.22:
	v_mul_lo_u16_e32 v14, 0x42, v16
	v_lshlrev_b32_e32 v15, 2, v17
	v_lshlrev_b32_e32 v14, 2, v14
	v_add3_u32 v14, 0, v15, v14
	v_perm_b32 v15, v9, v7, s6
	v_perm_b32 v16, v11, v8, s6
	ds_write2_b32 v14, v15, v16 offset1:22
	v_perm_b32 v15, v13, v10, s6
	ds_write_b32 v14, v15 offset:176
.LBB0_23:
	s_or_b64 exec, exec, s[2:3]
	s_waitcnt lgkmcnt(0)
	s_barrier
	ds_read_b32 v14, v18
	ds_read_b32 v20, v18 offset:1056
	ds_read_b32 v17, v18 offset:2112
	ds_read_b32 v16, v18 offset:3168
	ds_read_b32 v15, v18 offset:4224
	s_movk_i32 s2, 0x63
	v_cmp_gt_u32_e32 vcc, s2, v0
	s_and_saveexec_b64 s[2:3], vcc
	s_cbranch_execz .LBB0_25
; %bb.24:
	ds_read_b32 v4, v18 offset:660
	ds_read_b32 v5, v18 offset:4884
	;; [unrolled: 1-line block ×5, first 2 shown]
	s_waitcnt lgkmcnt(4)
	v_lshrrev_b32_e32 v6, 16, v4
	s_waitcnt lgkmcnt(3)
	v_lshrrev_b32_e32 v19, 16, v5
	;; [unrolled: 2-line block ×5, first 2 shown]
.LBB0_25:
	s_or_b64 exec, exec, s[2:3]
	s_movk_i32 s2, 0xf9
	v_mul_lo_u16_sdwa v21, v0, s2 dst_sel:DWORD dst_unused:UNUSED_PAD src0_sel:BYTE_0 src1_sel:DWORD
	v_lshrrev_b16_e32 v21, 14, v21
	v_mul_lo_u16_e32 v22, 0x42, v21
	v_sub_u16_e32 v26, v0, v22
	v_mov_b32_e32 v22, 4
	v_lshlrev_b32_sdwa v22, v22, v26 dst_sel:DWORD dst_unused:UNUSED_PAD src0_sel:DWORD src1_sel:BYTE_0
	global_load_dwordx4 v[22:25], v22, s[4:5] offset:220
	s_waitcnt lgkmcnt(3)
	v_lshrrev_b32_e32 v28, 16, v20
	s_waitcnt lgkmcnt(2)
	v_lshrrev_b32_e32 v29, 16, v17
	;; [unrolled: 2-line block ×4, first 2 shown]
	v_mov_b32_e32 v32, 2
	v_lshlrev_b32_sdwa v26, v32, v26 dst_sel:DWORD dst_unused:UNUSED_PAD src0_sel:DWORD src1_sel:BYTE_0
	v_lshrrev_b32_e32 v27, 16, v14
	s_movk_i32 s8, 0x3b9c
	s_mov_b32 s10, 0xbb9c
	s_movk_i32 s7, 0x38b4
	s_mov_b32 s9, 0xb8b4
	s_movk_i32 s6, 0x34f2
	v_mul_u32_u24_e32 v21, 0x528, v21
	v_add3_u32 v21, 0, v21, v26
	s_barrier
	s_waitcnt vmcnt(0)
	v_mul_f16_sdwa v32, v22, v28 dst_sel:DWORD dst_unused:UNUSED_PAD src0_sel:WORD_1 src1_sel:DWORD
	v_mul_f16_sdwa v33, v22, v20 dst_sel:DWORD dst_unused:UNUSED_PAD src0_sel:WORD_1 src1_sel:DWORD
	;; [unrolled: 1-line block ×8, first 2 shown]
	v_fma_f16 v20, v22, v20, -v32
	v_fma_f16 v22, v22, v28, v33
	v_fma_f16 v17, v23, v17, -v34
	v_fma_f16 v23, v23, v29, v35
	;; [unrolled: 2-line block ×4, first 2 shown]
	v_add_f16_e32 v28, v14, v20
	v_add_f16_e32 v29, v17, v16
	v_sub_f16_e32 v32, v20, v17
	v_sub_f16_e32 v33, v15, v16
	v_add_f16_e32 v37, v27, v22
	v_add_f16_e32 v38, v23, v24
	v_sub_f16_e32 v30, v22, v25
	v_sub_f16_e32 v31, v23, v24
	v_add_f16_e32 v34, v20, v15
	v_sub_f16_e32 v35, v17, v20
	v_sub_f16_e32 v20, v20, v15
	;; [unrolled: 1-line block ×4, first 2 shown]
	v_add_f16_e32 v42, v22, v25
	v_sub_f16_e32 v22, v23, v22
	v_add_f16_e32 v17, v28, v17
	v_fma_f16 v28, v29, -0.5, v14
	v_add_f16_e32 v29, v32, v33
	v_add_f16_e32 v23, v37, v23
	v_fma_f16 v33, v38, -0.5, v27
	v_sub_f16_e32 v36, v16, v15
	v_sub_f16_e32 v41, v25, v24
	;; [unrolled: 1-line block ×3, first 2 shown]
	v_fma_f16 v14, v34, -0.5, v14
	v_fma_f16 v27, v42, -0.5, v27
	v_add_f16_e32 v16, v17, v16
	v_fma_f16 v17, v30, s8, v28
	v_add_f16_e32 v23, v23, v24
	v_fma_f16 v24, v20, s10, v33
	v_add_f16_e32 v32, v35, v36
	v_add_f16_e32 v34, v40, v41
	v_fma_f16 v28, v30, s10, v28
	v_fma_f16 v35, v31, s10, v14
	;; [unrolled: 1-line block ×5, first 2 shown]
	v_add_f16_e32 v15, v16, v15
	v_fma_f16 v16, v31, s7, v17
	v_fma_f16 v24, v39, s9, v24
	v_add_f16_e32 v22, v22, v43
	v_fma_f16 v33, v20, s8, v33
	v_fma_f16 v17, v31, s9, v28
	;; [unrolled: 1-line block ×4, first 2 shown]
	v_add_f16_e32 v23, v23, v25
	v_fma_f16 v30, v20, s9, v36
	v_fma_f16 v20, v20, s7, v27
	;; [unrolled: 1-line block ×9, first 2 shown]
	v_pack_b32_f16 v15, v15, v23
	v_pack_b32_f16 v16, v16, v24
	v_fma_f16 v17, v29, s6, v17
	v_fma_f16 v25, v34, s6, v25
	ds_write2_b32 v21, v15, v16 offset1:66
	v_pack_b32_f16 v15, v27, v28
	v_pack_b32_f16 v14, v14, v20
	ds_write2_b32 v21, v15, v14 offset0:132 offset1:198
	v_pack_b32_f16 v14, v17, v25
	ds_write_b32 v21, v14 offset:1056
	s_and_saveexec_b64 s[2:3], vcc
	s_cbranch_execz .LBB0_27
; %bb.26:
	s_mov_b32 s11, 0xf83f
	v_mul_u32_u24_sdwa v14, v12, s11 dst_sel:DWORD dst_unused:UNUSED_PAD src0_sel:WORD_0 src1_sel:DWORD
	v_lshrrev_b32_e32 v20, 22, v14
	v_mul_lo_u16_e32 v14, 0x42, v20
	v_sub_u16_e32 v12, v12, v14
	v_lshlrev_b32_e32 v14, 4, v12
	global_load_dwordx4 v[14:17], v14, s[4:5] offset:220
	v_mul_lo_u16_e32 v20, 0x14a, v20
	v_lshlrev_b32_e32 v20, 2, v20
	v_lshlrev_b32_e32 v12, 2, v12
	v_add3_u32 v12, 0, v12, v20
	s_waitcnt vmcnt(0)
	v_mul_f16_sdwa v20, v8, v15 dst_sel:DWORD dst_unused:UNUSED_PAD src0_sel:DWORD src1_sel:WORD_1
	v_mul_f16_sdwa v21, v7, v14 dst_sel:DWORD dst_unused:UNUSED_PAD src0_sel:DWORD src1_sel:WORD_1
	;; [unrolled: 1-line block ×8, first 2 shown]
	v_fma_f16 v11, v11, v15, v20
	v_fma_f16 v9, v9, v14, v21
	v_fma_f16 v13, v13, v16, v22
	v_fma_f16 v19, v19, v17, v23
	v_fma_f16 v8, v8, v15, -v24
	v_fma_f16 v10, v10, v16, -v25
	v_fma_f16 v7, v7, v14, -v26
	v_fma_f16 v5, v5, v17, -v27
	v_sub_f16_e32 v14, v11, v9
	v_sub_f16_e32 v15, v13, v19
	v_add_f16_e32 v17, v9, v19
	v_sub_f16_e32 v21, v8, v7
	v_sub_f16_e32 v22, v10, v5
	v_add_f16_e32 v24, v7, v5
	v_add_f16_e32 v28, v11, v13
	v_add_f16_e32 v31, v8, v10
	v_sub_f16_e32 v20, v7, v5
	v_sub_f16_e32 v23, v9, v19
	v_sub_f16_e32 v26, v9, v11
	v_sub_f16_e32 v27, v19, v13
	v_sub_f16_e32 v29, v7, v8
	v_add_f16_e32 v9, v6, v9
	v_add_f16_e32 v7, v4, v7
	;; [unrolled: 1-line block ×3, first 2 shown]
	v_fma_f16 v15, v17, -0.5, v6
	v_add_f16_e32 v17, v21, v22
	v_fma_f16 v21, v24, -0.5, v4
	v_fma_f16 v6, v28, -0.5, v6
	;; [unrolled: 1-line block ×3, first 2 shown]
	v_sub_f16_e32 v16, v8, v10
	v_sub_f16_e32 v25, v11, v13
	;; [unrolled: 1-line block ×3, first 2 shown]
	v_add_f16_e32 v22, v26, v27
	v_add_f16_e32 v9, v9, v11
	;; [unrolled: 1-line block ×3, first 2 shown]
	v_fma_f16 v26, v20, s10, v6
	v_fma_f16 v27, v23, s8, v4
	v_add_f16_e32 v24, v29, v30
	v_fma_f16 v8, v16, s8, v15
	v_fma_f16 v11, v25, s10, v21
	v_add_f16_e32 v9, v9, v13
	v_add_f16_e32 v7, v7, v10
	v_fma_f16 v10, v16, s10, v15
	v_fma_f16 v6, v20, s8, v6
	;; [unrolled: 1-line block ×8, first 2 shown]
	v_add_f16_e32 v9, v9, v19
	v_add_f16_e32 v5, v7, v5
	v_fma_f16 v7, v20, s7, v10
	v_fma_f16 v6, v16, s7, v6
	;; [unrolled: 1-line block ×12, first 2 shown]
	v_pack_b32_f16 v5, v5, v9
	v_pack_b32_f16 v9, v15, v13
	;; [unrolled: 1-line block ×5, first 2 shown]
	ds_write2_b32 v12, v5, v9 offset1:66
	ds_write2_b32 v12, v8, v7 offset0:132 offset1:198
	ds_write_b32 v12, v4 offset:1056
.LBB0_27:
	s_or_b64 exec, exec, s[2:3]
	v_mul_u32_u24_e32 v4, 3, v0
	v_lshlrev_b32_e32 v7, 2, v4
	s_waitcnt lgkmcnt(0)
	s_barrier
	global_load_dwordx3 v[4:6], v7, s[4:5] offset:1276
	global_load_dwordx3 v[8:10], v7, s[4:5] offset:3256
	v_add_u32_e32 v7, 0x700, v18
	ds_read2_b32 v[12:13], v18 offset1:165
	v_add_u32_e32 v11, 0xc00, v18
	ds_read_b32 v1, v1
	ds_read_u16 v19, v18 offset:4622
	ds_read_b32 v20, v18 offset:4620
	ds_read2_b32 v[14:15], v7 offset0:47 offset1:212
	ds_read2_b32 v[16:17], v11 offset0:57 offset1:222
	v_add_u32_e32 v21, 0x400, v18
	s_waitcnt lgkmcnt(4)
	v_lshrrev_b32_e32 v7, 16, v1
	v_lshrrev_b32_e32 v11, 16, v12
	s_waitcnt lgkmcnt(1)
	v_lshrrev_b32_e32 v23, 16, v15
	s_waitcnt lgkmcnt(0)
	v_lshrrev_b32_e32 v24, 16, v17
	v_lshrrev_b32_e32 v25, 16, v14
	v_lshrrev_b32_e32 v26, 16, v16
	v_lshrrev_b32_e32 v22, 16, v13
	s_barrier
	s_waitcnt vmcnt(1)
	v_mul_f16_sdwa v27, v4, v7 dst_sel:DWORD dst_unused:UNUSED_PAD src0_sel:WORD_1 src1_sel:DWORD
	v_mul_f16_sdwa v28, v4, v1 dst_sel:DWORD dst_unused:UNUSED_PAD src0_sel:WORD_1 src1_sel:DWORD
	;; [unrolled: 1-line block ×6, first 2 shown]
	s_waitcnt vmcnt(0)
	v_mul_f16_sdwa v33, v8, v25 dst_sel:DWORD dst_unused:UNUSED_PAD src0_sel:WORD_1 src1_sel:DWORD
	v_mul_f16_sdwa v34, v8, v14 dst_sel:DWORD dst_unused:UNUSED_PAD src0_sel:WORD_1 src1_sel:DWORD
	;; [unrolled: 1-line block ×4, first 2 shown]
	v_mul_f16_sdwa v37, v19, v10 dst_sel:DWORD dst_unused:UNUSED_PAD src0_sel:DWORD src1_sel:WORD_1
	v_mul_f16_sdwa v38, v10, v20 dst_sel:DWORD dst_unused:UNUSED_PAD src0_sel:WORD_1 src1_sel:DWORD
	v_fma_f16 v1, v4, v1, -v27
	v_fma_f16 v4, v4, v7, v28
	v_fma_f16 v7, v5, v15, -v29
	v_fma_f16 v5, v5, v23, v30
	;; [unrolled: 2-line block ×6, first 2 shown]
	v_sub_f16_e32 v7, v12, v7
	v_sub_f16_e32 v5, v11, v5
	v_sub_f16_e32 v15, v1, v15
	v_sub_f16_e32 v6, v4, v6
	v_sub_f16_e32 v16, v13, v16
	v_sub_f16_e32 v9, v22, v9
	v_sub_f16_e32 v17, v14, v17
	v_sub_f16_e32 v10, v8, v10
	v_fma_f16 v12, v12, 2.0, -v7
	v_fma_f16 v11, v11, 2.0, -v5
	;; [unrolled: 1-line block ×4, first 2 shown]
	v_sub_f16_e32 v6, v7, v6
	v_add_f16_e32 v15, v5, v15
	v_fma_f16 v13, v13, 2.0, -v16
	v_fma_f16 v19, v22, 2.0, -v9
	;; [unrolled: 1-line block ×4, first 2 shown]
	v_sub_f16_e32 v10, v16, v10
	v_add_f16_e32 v17, v9, v17
	v_sub_f16_e32 v1, v12, v1
	v_sub_f16_e32 v4, v11, v4
	v_fma_f16 v7, v7, 2.0, -v6
	v_fma_f16 v5, v5, 2.0, -v15
	v_sub_f16_e32 v14, v13, v14
	v_sub_f16_e32 v8, v19, v8
	v_fma_f16 v16, v16, 2.0, -v10
	v_fma_f16 v9, v9, 2.0, -v17
	v_pack_b32_f16 v6, v6, v15
	v_fma_f16 v12, v12, 2.0, -v1
	v_fma_f16 v11, v11, 2.0, -v4
	v_fma_f16 v13, v13, 2.0, -v14
	v_fma_f16 v15, v19, 2.0, -v8
	v_pack_b32_f16 v5, v7, v5
	v_pack_b32_f16 v1, v1, v4
	;; [unrolled: 1-line block ×5, first 2 shown]
	ds_write2_b32 v21, v5, v4 offset0:74 offset1:239
	ds_write2_b32 v18, v7, v9 offset1:165
	v_pack_b32_f16 v4, v14, v8
	v_add_u32_e32 v5, 0xa00, v18
	ds_write2_b32 v5, v1, v4 offset0:20 offset1:185
	v_pack_b32_f16 v1, v10, v17
	v_add_u32_e32 v4, 0xf00, v18
	ds_write2_b32 v4, v6, v1 offset0:30 offset1:195
	s_waitcnt lgkmcnt(0)
	s_barrier
	s_and_saveexec_b64 s[2:3], s[0:1]
	s_cbranch_execz .LBB0_29
; %bb.28:
	v_lshl_add_u32 v10, v0, 2, 0
	ds_read2_b32 v[4:5], v10 offset1:165
	v_mov_b32_e32 v1, 0
	v_lshl_add_u64 v[8:9], v[0:1], 2, v[2:3]
	v_add_u32_e32 v6, 0xa5, v0
	v_mov_b32_e32 v7, v1
	s_waitcnt lgkmcnt(0)
	global_store_dword v[8:9], v4, off
	v_add_u32_e32 v4, 0x400, v10
	ds_read2_b32 v[8:9], v4 offset0:74 offset1:239
	v_lshl_add_u64 v[6:7], v[6:7], 2, v[2:3]
	global_store_dword v[6:7], v5, off
	v_add_u32_e32 v4, 0x14a, v0
	v_mov_b32_e32 v5, v1
	v_add_u32_e32 v6, 0xa00, v10
	v_lshl_add_u64 v[4:5], v[4:5], 2, v[2:3]
	ds_read2_b32 v[6:7], v6 offset0:20 offset1:185
	s_waitcnt lgkmcnt(1)
	global_store_dword v[4:5], v8, off
	v_add_u32_e32 v4, 0x1ef, v0
	v_mov_b32_e32 v5, v1
	v_lshl_add_u64 v[4:5], v[4:5], 2, v[2:3]
	global_store_dword v[4:5], v9, off
	v_add_u32_e32 v4, 0x294, v0
	v_mov_b32_e32 v5, v1
	v_lshl_add_u64 v[4:5], v[4:5], 2, v[2:3]
	s_waitcnt lgkmcnt(0)
	global_store_dword v[4:5], v6, off
	v_add_u32_e32 v6, 0xf00, v10
	ds_read2_b32 v[8:9], v6 offset0:30 offset1:195
	v_add_u32_e32 v4, 0x339, v0
	v_mov_b32_e32 v5, v1
	v_lshl_add_u64 v[4:5], v[4:5], 2, v[2:3]
	global_store_dword v[4:5], v7, off
	v_add_u32_e32 v4, 0x3de, v0
	v_mov_b32_e32 v5, v1
	v_add_u32_e32 v0, 0x483, v0
	v_lshl_add_u64 v[4:5], v[4:5], 2, v[2:3]
	v_lshl_add_u64 v[0:1], v[0:1], 2, v[2:3]
	s_waitcnt lgkmcnt(0)
	global_store_dword v[4:5], v8, off
	global_store_dword v[0:1], v9, off
.LBB0_29:
	s_endpgm
	.section	.rodata,"a",@progbits
	.p2align	6, 0x0
	.amdhsa_kernel fft_rtc_fwd_len1320_factors_11_2_3_5_4_wgs_165_tpt_165_half_ip_CI_unitstride_sbrr_C2R_dirReg
		.amdhsa_group_segment_fixed_size 0
		.amdhsa_private_segment_fixed_size 0
		.amdhsa_kernarg_size 88
		.amdhsa_user_sgpr_count 2
		.amdhsa_user_sgpr_dispatch_ptr 0
		.amdhsa_user_sgpr_queue_ptr 0
		.amdhsa_user_sgpr_kernarg_segment_ptr 1
		.amdhsa_user_sgpr_dispatch_id 0
		.amdhsa_user_sgpr_kernarg_preload_length 0
		.amdhsa_user_sgpr_kernarg_preload_offset 0
		.amdhsa_user_sgpr_private_segment_size 0
		.amdhsa_uses_dynamic_stack 0
		.amdhsa_enable_private_segment 0
		.amdhsa_system_sgpr_workgroup_id_x 1
		.amdhsa_system_sgpr_workgroup_id_y 0
		.amdhsa_system_sgpr_workgroup_id_z 0
		.amdhsa_system_sgpr_workgroup_info 0
		.amdhsa_system_vgpr_workitem_id 0
		.amdhsa_next_free_vgpr 90
		.amdhsa_next_free_sgpr 22
		.amdhsa_accum_offset 92
		.amdhsa_reserve_vcc 1
		.amdhsa_float_round_mode_32 0
		.amdhsa_float_round_mode_16_64 0
		.amdhsa_float_denorm_mode_32 3
		.amdhsa_float_denorm_mode_16_64 3
		.amdhsa_dx10_clamp 1
		.amdhsa_ieee_mode 1
		.amdhsa_fp16_overflow 0
		.amdhsa_tg_split 0
		.amdhsa_exception_fp_ieee_invalid_op 0
		.amdhsa_exception_fp_denorm_src 0
		.amdhsa_exception_fp_ieee_div_zero 0
		.amdhsa_exception_fp_ieee_overflow 0
		.amdhsa_exception_fp_ieee_underflow 0
		.amdhsa_exception_fp_ieee_inexact 0
		.amdhsa_exception_int_div_zero 0
	.end_amdhsa_kernel
	.text
.Lfunc_end0:
	.size	fft_rtc_fwd_len1320_factors_11_2_3_5_4_wgs_165_tpt_165_half_ip_CI_unitstride_sbrr_C2R_dirReg, .Lfunc_end0-fft_rtc_fwd_len1320_factors_11_2_3_5_4_wgs_165_tpt_165_half_ip_CI_unitstride_sbrr_C2R_dirReg
                                        ; -- End function
	.section	.AMDGPU.csdata,"",@progbits
; Kernel info:
; codeLenInByte = 8488
; NumSgprs: 28
; NumVgprs: 90
; NumAgprs: 0
; TotalNumVgprs: 90
; ScratchSize: 0
; MemoryBound: 0
; FloatMode: 240
; IeeeMode: 1
; LDSByteSize: 0 bytes/workgroup (compile time only)
; SGPRBlocks: 3
; VGPRBlocks: 11
; NumSGPRsForWavesPerEU: 28
; NumVGPRsForWavesPerEU: 90
; AccumOffset: 92
; Occupancy: 5
; WaveLimiterHint : 1
; COMPUTE_PGM_RSRC2:SCRATCH_EN: 0
; COMPUTE_PGM_RSRC2:USER_SGPR: 2
; COMPUTE_PGM_RSRC2:TRAP_HANDLER: 0
; COMPUTE_PGM_RSRC2:TGID_X_EN: 1
; COMPUTE_PGM_RSRC2:TGID_Y_EN: 0
; COMPUTE_PGM_RSRC2:TGID_Z_EN: 0
; COMPUTE_PGM_RSRC2:TIDIG_COMP_CNT: 0
; COMPUTE_PGM_RSRC3_GFX90A:ACCUM_OFFSET: 22
; COMPUTE_PGM_RSRC3_GFX90A:TG_SPLIT: 0
	.text
	.p2alignl 6, 3212836864
	.fill 256, 4, 3212836864
	.type	__hip_cuid_a2577f5604d52ef3,@object ; @__hip_cuid_a2577f5604d52ef3
	.section	.bss,"aw",@nobits
	.globl	__hip_cuid_a2577f5604d52ef3
__hip_cuid_a2577f5604d52ef3:
	.byte	0                               ; 0x0
	.size	__hip_cuid_a2577f5604d52ef3, 1

	.ident	"AMD clang version 19.0.0git (https://github.com/RadeonOpenCompute/llvm-project roc-6.4.0 25133 c7fe45cf4b819c5991fe208aaa96edf142730f1d)"
	.section	".note.GNU-stack","",@progbits
	.addrsig
	.addrsig_sym __hip_cuid_a2577f5604d52ef3
	.amdgpu_metadata
---
amdhsa.kernels:
  - .agpr_count:     0
    .args:
      - .actual_access:  read_only
        .address_space:  global
        .offset:         0
        .size:           8
        .value_kind:     global_buffer
      - .offset:         8
        .size:           8
        .value_kind:     by_value
      - .actual_access:  read_only
        .address_space:  global
        .offset:         16
        .size:           8
        .value_kind:     global_buffer
      - .actual_access:  read_only
        .address_space:  global
        .offset:         24
        .size:           8
        .value_kind:     global_buffer
      - .offset:         32
        .size:           8
        .value_kind:     by_value
      - .actual_access:  read_only
        .address_space:  global
        .offset:         40
        .size:           8
        .value_kind:     global_buffer
      - .actual_access:  read_only
        .address_space:  global
        .offset:         48
        .size:           8
        .value_kind:     global_buffer
      - .offset:         56
        .size:           4
        .value_kind:     by_value
      - .actual_access:  read_only
        .address_space:  global
        .offset:         64
        .size:           8
        .value_kind:     global_buffer
      - .actual_access:  read_only
        .address_space:  global
        .offset:         72
        .size:           8
        .value_kind:     global_buffer
      - .address_space:  global
        .offset:         80
        .size:           8
        .value_kind:     global_buffer
    .group_segment_fixed_size: 0
    .kernarg_segment_align: 8
    .kernarg_segment_size: 88
    .language:       OpenCL C
    .language_version:
      - 2
      - 0
    .max_flat_workgroup_size: 165
    .name:           fft_rtc_fwd_len1320_factors_11_2_3_5_4_wgs_165_tpt_165_half_ip_CI_unitstride_sbrr_C2R_dirReg
    .private_segment_fixed_size: 0
    .sgpr_count:     28
    .sgpr_spill_count: 0
    .symbol:         fft_rtc_fwd_len1320_factors_11_2_3_5_4_wgs_165_tpt_165_half_ip_CI_unitstride_sbrr_C2R_dirReg.kd
    .uniform_work_group_size: 1
    .uses_dynamic_stack: false
    .vgpr_count:     90
    .vgpr_spill_count: 0
    .wavefront_size: 64
amdhsa.target:   amdgcn-amd-amdhsa--gfx950
amdhsa.version:
  - 1
  - 2
...

	.end_amdgpu_metadata
